;; amdgpu-corpus repo=ROCm/rocFFT kind=compiled arch=gfx1201 opt=O3
	.text
	.amdgcn_target "amdgcn-amd-amdhsa--gfx1201"
	.amdhsa_code_object_version 6
	.protected	bluestein_single_fwd_len588_dim1_dp_op_CI_CI ; -- Begin function bluestein_single_fwd_len588_dim1_dp_op_CI_CI
	.globl	bluestein_single_fwd_len588_dim1_dp_op_CI_CI
	.p2align	8
	.type	bluestein_single_fwd_len588_dim1_dp_op_CI_CI,@function
bluestein_single_fwd_len588_dim1_dp_op_CI_CI: ; @bluestein_single_fwd_len588_dim1_dp_op_CI_CI
; %bb.0:
	s_load_b128 s[16:19], s[0:1], 0x28
	v_mul_u32_u24_e32 v1, 0x30d, v0
	s_mov_b32 s2, exec_lo
	s_delay_alu instid0(VALU_DEP_1) | instskip(NEXT) | instid1(VALU_DEP_1)
	v_lshrrev_b32_e32 v1, 16, v1
	v_mad_co_u64_u32 v[136:137], null, ttmp9, 3, v[1:2]
	v_mov_b32_e32 v137, 0
	s_wait_kmcnt 0x0
	s_delay_alu instid0(VALU_DEP_1)
	v_cmpx_gt_u64_e64 s[16:17], v[136:137]
	s_cbranch_execz .LBB0_18
; %bb.1:
	s_clause 0x1
	s_load_b128 s[4:7], s[0:1], 0x18
	s_load_b128 s[8:11], s[0:1], 0x0
	v_mul_lo_u16 v1, 0x54, v1
	v_mul_hi_u32 v85, 0xaaaaaaab, v136
	s_mov_b32 s17, 0x3fe77f67
	s_mov_b32 s16, 0x5476071b
	s_delay_alu instid0(VALU_DEP_2) | instskip(NEXT) | instid1(VALU_DEP_1)
	v_sub_nc_u16 v28, v0, v1
	v_and_b32_e32 v137, 0xffff, v28
	s_delay_alu instid0(VALU_DEP_1)
	v_lshlrev_b32_e32 v114, 4, v137
	s_wait_kmcnt 0x0
	s_load_b128 s[12:15], s[4:5], 0x0
	s_wait_kmcnt 0x0
	v_mad_co_u64_u32 v[0:1], null, s14, v136, 0
	v_mad_co_u64_u32 v[2:3], null, s12, v137, 0
	s_mul_u64 s[2:3], s[12:13], 0x540
	s_delay_alu instid0(VALU_DEP_1) | instskip(SKIP_2) | instid1(VALU_DEP_1)
	v_mad_co_u64_u32 v[4:5], null, s15, v136, v[1:2]
	s_mov_b32 s14, 0xe976ee23
	s_mov_b32 s15, 0xbfe11646
	v_mad_co_u64_u32 v[5:6], null, s13, v137, v[3:4]
	v_mov_b32_e32 v1, v4
	s_mov_b32 s12, 0x36b3c0b5
	s_mov_b32 s13, 0x3fac98ee
	s_delay_alu instid0(VALU_DEP_1) | instskip(NEXT) | instid1(VALU_DEP_3)
	v_lshlrev_b64_e32 v[0:1], 4, v[0:1]
	v_mov_b32_e32 v3, v5
	s_delay_alu instid0(VALU_DEP_2) | instskip(NEXT) | instid1(VALU_DEP_2)
	v_add_co_u32 v0, vcc_lo, s18, v0
	v_lshlrev_b64_e32 v[2:3], 4, v[2:3]
	s_delay_alu instid0(VALU_DEP_4) | instskip(SKIP_2) | instid1(VALU_DEP_2)
	v_add_co_ci_u32_e32 v1, vcc_lo, s19, v1, vcc_lo
	s_mov_b32 s19, 0x3fd5d0dc
	s_mov_b32 s18, 0xb247c609
	v_add_co_u32 v16, vcc_lo, v0, v2
	s_wait_alu 0xfffd
	v_add_co_ci_u32_e32 v17, vcc_lo, v1, v3, vcc_lo
	s_clause 0x1
	global_load_b128 v[0:3], v114, s[8:9]
	global_load_b128 v[4:7], v114, s[8:9] offset:1344
	v_add_co_u32 v18, vcc_lo, v16, s2
	s_wait_alu 0xfffd
	v_add_co_ci_u32_e32 v19, vcc_lo, s3, v17, vcc_lo
	s_clause 0x1
	global_load_b128 v[8:11], v114, s[8:9] offset:2688
	global_load_b128 v[12:15], v114, s[8:9] offset:4032
	v_add_co_u32 v20, vcc_lo, v18, s2
	s_wait_alu 0xfffd
	v_add_co_ci_u32_e32 v21, vcc_lo, s3, v19, vcc_lo
	global_load_b128 v[29:32], v[16:17], off
	v_add_co_u32 v22, vcc_lo, v20, s2
	s_wait_alu 0xfffd
	v_add_co_ci_u32_e32 v23, vcc_lo, s3, v21, vcc_lo
	s_clause 0x1
	global_load_b128 v[33:36], v[18:19], off
	global_load_b128 v[37:40], v[20:21], off
	v_add_co_u32 v16, vcc_lo, v22, s2
	s_wait_alu 0xfffd
	v_add_co_ci_u32_e32 v17, vcc_lo, s3, v23, vcc_lo
	s_clause 0x1
	global_load_b128 v[41:44], v[22:23], off
	global_load_b128 v[45:48], v[16:17], off
	v_add_co_u32 v24, vcc_lo, v16, s2
	s_wait_alu 0xfffd
	v_add_co_ci_u32_e32 v25, vcc_lo, s3, v17, vcc_lo
	s_delay_alu instid0(VALU_DEP_2) | instskip(SKIP_1) | instid1(VALU_DEP_2)
	v_add_co_u32 v53, vcc_lo, v24, s2
	s_wait_alu 0xfffd
	v_add_co_ci_u32_e32 v54, vcc_lo, s3, v25, vcc_lo
	s_clause 0x1
	global_load_b128 v[20:23], v114, s[8:9] offset:5376
	global_load_b128 v[16:19], v114, s[8:9] offset:6720
	global_load_b128 v[49:52], v[24:25], off
	global_load_b128 v[24:27], v114, s[8:9] offset:8064
	global_load_b128 v[53:56], v[53:54], off
	s_load_b128 s[4:7], s[6:7], 0x0
	s_mov_b32 s2, 0x37e14327
	s_mov_b32 s3, 0x3fe948f6
	v_cmp_gt_u16_e32 vcc_lo, 28, v28
	s_wait_loadcnt 0x9
	v_mul_f64_e32 v[57:58], v[31:32], v[2:3]
	v_mul_f64_e32 v[59:60], v[29:30], v[2:3]
	s_wait_loadcnt 0x8
	v_mul_f64_e32 v[61:62], v[35:36], v[6:7]
	v_mul_f64_e32 v[63:64], v[33:34], v[6:7]
	;; [unrolled: 3-line block ×7, first 2 shown]
	v_fma_f64 v[29:30], v[29:30], v[0:1], v[57:58]
	v_fma_f64 v[31:32], v[31:32], v[0:1], -v[59:60]
	v_lshrrev_b32_e32 v57, 1, v85
	v_fma_f64 v[33:34], v[33:34], v[4:5], v[61:62]
	v_fma_f64 v[35:36], v[35:36], v[4:5], -v[63:64]
	v_fma_f64 v[37:38], v[37:38], v[8:9], v[65:66]
	v_fma_f64 v[39:40], v[39:40], v[8:9], -v[67:68]
	v_lshl_add_u32 v57, v57, 1, v57
	v_fma_f64 v[41:42], v[41:42], v[12:13], v[69:70]
	v_fma_f64 v[43:44], v[43:44], v[12:13], -v[71:72]
	s_delay_alu instid0(VALU_DEP_3)
	v_sub_nc_u32_e32 v57, v136, v57
	v_fma_f64 v[45:46], v[45:46], v[20:21], v[73:74]
	v_fma_f64 v[47:48], v[47:48], v[20:21], -v[75:76]
	v_fma_f64 v[49:50], v[49:50], v[16:17], v[77:78]
	v_fma_f64 v[51:52], v[51:52], v[16:17], -v[79:80]
	;; [unrolled: 2-line block ×3, first 2 shown]
	v_mul_u32_u24_e32 v57, 0x24c, v57
                                        ; implicit-def: $vgpr80_vgpr81
                                        ; implicit-def: $vgpr84_vgpr85
	s_delay_alu instid0(VALU_DEP_1) | instskip(NEXT) | instid1(VALU_DEP_1)
	v_lshlrev_b32_e32 v139, 4, v57
	v_add_nc_u32_e32 v138, v114, v139
	ds_store_b128 v138, v[29:32]
	ds_store_b128 v138, v[33:36] offset:1344
	ds_store_b128 v138, v[37:40] offset:2688
	;; [unrolled: 1-line block ×6, first 2 shown]
	global_wb scope:SCOPE_SE
	s_wait_dscnt 0x0
	s_wait_kmcnt 0x0
	s_barrier_signal -1
	s_barrier_wait -1
	global_inv scope:SCOPE_SE
	ds_load_b128 v[29:32], v138 offset:1344
	ds_load_b128 v[33:36], v138 offset:8064
	;; [unrolled: 1-line block ×6, first 2 shown]
	s_wait_dscnt 0x4
	v_add_f64_e32 v[53:54], v[29:30], v[33:34]
	v_add_f64_e32 v[55:56], v[31:32], v[35:36]
	s_wait_dscnt 0x2
	v_add_f64_e32 v[57:58], v[41:42], v[37:38]
	v_add_f64_e32 v[59:60], v[43:44], v[39:40]
	;; [unrolled: 3-line block ×3, first 2 shown]
	v_add_f64_e64 v[37:38], v[41:42], -v[37:38]
	v_add_f64_e64 v[39:40], v[43:44], -v[39:40]
	;; [unrolled: 1-line block ×6, first 2 shown]
	v_add_f64_e32 v[29:30], v[57:58], v[53:54]
	v_add_f64_e32 v[31:32], v[59:60], v[55:56]
	v_add_f64_e64 v[45:46], v[53:54], -v[61:62]
	v_add_f64_e64 v[47:48], v[55:56], -v[63:64]
	v_add_f64_e64 v[49:50], v[61:62], -v[57:58]
	v_add_f64_e64 v[51:52], v[63:64], -v[59:60]
	v_add_f64_e64 v[65:66], v[41:42], -v[37:38]
	v_add_f64_e64 v[67:68], v[43:44], -v[39:40]
	v_add_f64_e64 v[69:70], v[37:38], -v[33:34]
	v_add_f64_e64 v[71:72], v[39:40], -v[35:36]
	v_add_f64_e64 v[53:54], v[57:58], -v[53:54]
	v_add_f64_e64 v[55:56], v[59:60], -v[55:56]
	v_add_f64_e32 v[37:38], v[41:42], v[37:38]
	v_add_f64_e32 v[39:40], v[43:44], v[39:40]
	v_add_f64_e64 v[41:42], v[33:34], -v[41:42]
	v_add_f64_e64 v[43:44], v[35:36], -v[43:44]
	v_add_f64_e32 v[61:62], v[61:62], v[29:30]
	v_add_f64_e32 v[63:64], v[63:64], v[31:32]
	ds_load_b128 v[29:32], v138
	s_wait_alu 0xfffe
	v_mul_f64_e32 v[45:46], s[2:3], v[45:46]
	v_mul_f64_e32 v[47:48], s[2:3], v[47:48]
	s_mov_b32 s2, 0x429ad128
	v_mul_f64_e32 v[57:58], s[12:13], v[49:50]
	v_mul_f64_e32 v[59:60], s[12:13], v[51:52]
	;; [unrolled: 1-line block ×4, first 2 shown]
	s_mov_b32 s3, 0x3febfeb5
	s_mov_b32 s14, 0xaaaaaaaa
	s_wait_alu 0xfffe
	v_mul_f64_e32 v[73:74], s[2:3], v[69:70]
	v_mul_f64_e32 v[75:76], s[2:3], v[71:72]
	s_mov_b32 s15, 0xbff2aaaa
	v_add_f64_e32 v[33:34], v[37:38], v[33:34]
	v_add_f64_e32 v[35:36], v[39:40], v[35:36]
	global_wb scope:SCOPE_SE
	s_wait_dscnt 0x0
	s_barrier_signal -1
	s_barrier_wait -1
	global_inv scope:SCOPE_SE
	v_add_f64_e32 v[29:30], v[29:30], v[61:62]
	v_add_f64_e32 v[31:32], v[31:32], v[63:64]
	v_fma_f64 v[37:38], v[49:50], s[12:13], v[45:46]
	v_fma_f64 v[39:40], v[51:52], s[12:13], v[47:48]
	v_fma_f64 v[49:50], v[53:54], s[16:17], -v[57:58]
	v_fma_f64 v[51:52], v[55:56], s[16:17], -v[59:60]
	s_mov_b32 s17, 0xbfe77f67
	v_fma_f64 v[57:58], v[41:42], s[18:19], v[65:66]
	v_fma_f64 v[59:60], v[43:44], s[18:19], v[67:68]
	s_mov_b32 s19, 0xbfd5d0dc
	v_fma_f64 v[65:66], v[69:70], s[2:3], -v[65:66]
	v_fma_f64 v[67:68], v[71:72], s[2:3], -v[67:68]
	s_wait_alu 0xfffe
	v_fma_f64 v[41:42], v[41:42], s[18:19], -v[73:74]
	v_fma_f64 v[43:44], v[43:44], s[18:19], -v[75:76]
	;; [unrolled: 1-line block ×4, first 2 shown]
	s_mov_b32 s2, 0x37c3f68c
	s_mov_b32 s3, 0x3fdc38aa
	v_fma_f64 v[61:62], v[61:62], s[14:15], v[29:30]
	v_fma_f64 v[63:64], v[63:64], s[14:15], v[31:32]
	s_wait_alu 0xfffe
	v_fma_f64 v[54:55], v[33:34], s[2:3], v[57:58]
	v_fma_f64 v[69:70], v[35:36], s[2:3], v[59:60]
	;; [unrolled: 1-line block ×6, first 2 shown]
	s_load_b64 s[2:3], s[0:1], 0x38
	v_add_f64_e32 v[71:72], v[37:38], v[61:62]
	v_add_f64_e32 v[73:74], v[39:40], v[63:64]
	;; [unrolled: 1-line block ×6, first 2 shown]
	v_mul_lo_u16 v49, v28, 7
	s_delay_alu instid0(VALU_DEP_1) | instskip(NEXT) | instid1(VALU_DEP_1)
	v_and_b32_e32 v49, 0xffff, v49
	v_lshl_add_u32 v115, v49, 4, v139
	v_add_f64_e32 v[33:34], v[71:72], v[69:70]
	v_add_f64_e64 v[35:36], v[73:74], -v[54:55]
	v_add_f64_e32 v[37:38], v[75:76], v[67:68]
	v_add_f64_e64 v[39:40], v[77:78], -v[65:66]
	v_add_f64_e64 v[41:42], v[45:46], -v[58:59]
	v_add_f64_e32 v[43:44], v[56:57], v[47:48]
	v_add_f64_e32 v[45:46], v[45:46], v[58:59]
	v_add_f64_e64 v[47:48], v[47:48], -v[56:57]
	v_add_f64_e64 v[56:57], v[75:76], -v[67:68]
	v_add_f64_e32 v[58:59], v[65:66], v[77:78]
	v_add_f64_e64 v[52:53], v[71:72], -v[69:70]
	v_add_f64_e32 v[54:55], v[54:55], v[73:74]
	ds_store_b128 v115, v[29:32]
	ds_store_b128 v115, v[33:36] offset:16
	ds_store_b128 v115, v[37:40] offset:32
	;; [unrolled: 1-line block ×6, first 2 shown]
	global_wb scope:SCOPE_SE
	s_wait_dscnt 0x0
	s_wait_kmcnt 0x0
	s_barrier_signal -1
	s_barrier_wait -1
	global_inv scope:SCOPE_SE
	ds_load_b128 v[60:63], v138
	ds_load_b128 v[56:59], v138 offset:1344
	ds_load_b128 v[72:75], v138 offset:3136
	;; [unrolled: 1-line block ×5, first 2 shown]
	s_and_saveexec_b32 s0, vcc_lo
	s_cbranch_execz .LBB0_3
; %bb.2:
	ds_load_b128 v[52:55], v138 offset:2688
	ds_load_b128 v[80:83], v138 offset:5824
	;; [unrolled: 1-line block ×3, first 2 shown]
.LBB0_3:
	s_wait_alu 0xfffe
	s_or_b32 exec_lo, exec_lo, s0
	v_add_nc_u16 v116, v137, 0x54
	v_and_b32_e32 v118, 0xff, v137
	v_add_nc_u16 v28, v137, 0xa8
	s_mov_b32 s0, 0xe8584caa
	s_mov_b32 s1, 0x3febb67a
	v_and_b32_e32 v117, 0xff, v116
	v_mul_lo_u16 v29, v118, 37
	v_and_b32_e32 v30, 0xff, v28
	s_mov_b32 s13, 0xbfebb67a
	s_wait_alu 0xfffe
	s_mov_b32 s12, s0
	v_mul_lo_u16 v31, v117, 37
	v_lshrrev_b16 v29, 8, v29
	v_mul_lo_u16 v30, v30, 37
	s_delay_alu instid0(VALU_DEP_3) | instskip(NEXT) | instid1(VALU_DEP_3)
	v_lshrrev_b16 v31, 8, v31
	v_sub_nc_u16 v32, v137, v29
	s_delay_alu instid0(VALU_DEP_3) | instskip(NEXT) | instid1(VALU_DEP_3)
	v_lshrrev_b16 v30, 8, v30
	v_sub_nc_u16 v33, v116, v31
	;; [unrolled: 3-line block ×3, first 2 shown]
	s_delay_alu instid0(VALU_DEP_3) | instskip(NEXT) | instid1(VALU_DEP_3)
	v_lshrrev_b16 v33, 1, v33
	v_and_b32_e32 v32, 0x7f, v32
	s_delay_alu instid0(VALU_DEP_3) | instskip(NEXT) | instid1(VALU_DEP_3)
	v_lshrrev_b16 v34, 1, v34
	v_and_b32_e32 v33, 0x7f, v33
	s_delay_alu instid0(VALU_DEP_3) | instskip(NEXT) | instid1(VALU_DEP_3)
	v_add_nc_u16 v29, v32, v29
	v_and_b32_e32 v32, 0x7f, v34
	s_delay_alu instid0(VALU_DEP_3) | instskip(NEXT) | instid1(VALU_DEP_3)
	v_add_nc_u16 v31, v33, v31
	v_lshrrev_b16 v129, 2, v29
	s_delay_alu instid0(VALU_DEP_3) | instskip(NEXT) | instid1(VALU_DEP_3)
	v_add_nc_u16 v29, v32, v30
	v_lshrrev_b16 v130, 2, v31
	s_delay_alu instid0(VALU_DEP_3) | instskip(NEXT) | instid1(VALU_DEP_3)
	v_mul_lo_u16 v30, v129, 7
	v_lshrrev_b16 v140, 2, v29
	s_delay_alu instid0(VALU_DEP_3) | instskip(NEXT) | instid1(VALU_DEP_3)
	v_mul_lo_u16 v29, v130, 7
	v_sub_nc_u16 v30, v137, v30
	s_delay_alu instid0(VALU_DEP_3) | instskip(NEXT) | instid1(VALU_DEP_3)
	v_mul_lo_u16 v31, v140, 7
	v_sub_nc_u16 v29, v116, v29
	s_delay_alu instid0(VALU_DEP_3) | instskip(NEXT) | instid1(VALU_DEP_3)
	v_and_b32_e32 v131, 0xff, v30
	v_sub_nc_u16 v28, v28, v31
	s_delay_alu instid0(VALU_DEP_3) | instskip(NEXT) | instid1(VALU_DEP_3)
	v_and_b32_e32 v132, 0xff, v29
	v_lshlrev_b32_e32 v29, 5, v131
	s_delay_alu instid0(VALU_DEP_3)
	v_and_b32_e32 v141, 0xff, v28
	s_clause 0x1
	global_load_b128 v[40:43], v29, s[10:11]
	global_load_b128 v[32:35], v29, s[10:11] offset:16
	v_lshlrev_b32_e32 v28, 5, v132
	v_lshlrev_b32_e32 v44, 5, v141
	s_clause 0x3
	global_load_b128 v[36:39], v28, s[10:11]
	global_load_b128 v[28:31], v28, s[10:11] offset:16
	global_load_b128 v[48:51], v44, s[10:11]
	global_load_b128 v[44:47], v44, s[10:11] offset:16
	global_wb scope:SCOPE_SE
	s_wait_loadcnt_dscnt 0x0
	s_barrier_signal -1
	s_barrier_wait -1
	global_inv scope:SCOPE_SE
	v_mul_f64_e32 v[88:89], v[74:75], v[42:43]
	v_mul_f64_e32 v[90:91], v[78:79], v[34:35]
	;; [unrolled: 1-line block ×12, first 2 shown]
	v_fma_f64 v[72:73], v[72:73], v[40:41], -v[88:89]
	v_fma_f64 v[76:77], v[76:77], v[32:33], -v[90:91]
	v_fma_f64 v[74:75], v[74:75], v[40:41], v[92:93]
	v_fma_f64 v[78:79], v[78:79], v[32:33], v[94:95]
	v_fma_f64 v[64:65], v[64:65], v[36:37], -v[96:97]
	v_fma_f64 v[68:69], v[68:69], v[28:29], -v[98:99]
	v_fma_f64 v[66:67], v[66:67], v[36:37], v[100:101]
	v_fma_f64 v[70:71], v[70:71], v[28:29], v[102:103]
	;; [unrolled: 4-line block ×3, first 2 shown]
	v_add_f64_e32 v[100:101], v[60:61], v[72:73]
	v_add_f64_e32 v[88:89], v[72:73], v[76:77]
	v_add_f64_e64 v[72:73], v[72:73], -v[76:77]
	v_add_f64_e32 v[90:91], v[74:75], v[78:79]
	v_add_f64_e64 v[102:103], v[74:75], -v[78:79]
	v_add_f64_e32 v[92:93], v[64:65], v[68:69]
	v_add_f64_e32 v[74:75], v[62:63], v[74:75]
	;; [unrolled: 1-line block ×7, first 2 shown]
	v_add_f64_e64 v[121:122], v[66:67], -v[70:71]
	v_add_f64_e64 v[123:124], v[64:65], -v[68:69]
	v_add_f64_e64 v[125:126], v[82:83], -v[86:87]
	v_add_f64_e64 v[127:128], v[80:81], -v[84:85]
	v_add_f64_e32 v[104:105], v[56:57], v[64:65]
	v_add_f64_e32 v[106:107], v[58:59], v[66:67]
	v_fma_f64 v[112:113], v[88:89], -0.5, v[60:61]
	v_fma_f64 v[119:120], v[90:91], -0.5, v[62:63]
	;; [unrolled: 1-line block ×4, first 2 shown]
	v_add_f64_e32 v[88:89], v[108:109], v[84:85]
	v_fma_f64 v[96:97], v[96:97], -0.5, v[52:53]
	v_add_f64_e32 v[52:53], v[100:101], v[76:77]
	v_fma_f64 v[98:99], v[98:99], -0.5, v[54:55]
	v_add_f64_e32 v[54:55], v[74:75], v[78:79]
	v_add_f64_e32 v[90:91], v[110:111], v[86:87]
	;; [unrolled: 1-line block ×4, first 2 shown]
	v_and_b32_e32 v68, 0xffff, v129
	v_and_b32_e32 v69, 0xffff, v130
	s_delay_alu instid0(VALU_DEP_2) | instskip(NEXT) | instid1(VALU_DEP_2)
	v_mul_u32_u24_e32 v68, 21, v68
	v_mul_u32_u24_e32 v69, 21, v69
	s_delay_alu instid0(VALU_DEP_2) | instskip(NEXT) | instid1(VALU_DEP_2)
	v_add_nc_u32_e32 v68, v68, v131
	v_add_nc_u32_e32 v69, v69, v132
	s_delay_alu instid0(VALU_DEP_2) | instskip(NEXT) | instid1(VALU_DEP_2)
	v_lshl_add_u32 v144, v68, 4, v139
	v_lshl_add_u32 v143, v69, 4, v139
	v_fma_f64 v[60:61], v[102:103], s[0:1], v[112:113]
	s_wait_alu 0xfffe
	v_fma_f64 v[64:65], v[102:103], s[12:13], v[112:113]
	v_fma_f64 v[62:63], v[72:73], s[12:13], v[119:120]
	;; [unrolled: 1-line block ×11, first 2 shown]
	ds_store_b128 v144, v[52:55]
	ds_store_b128 v144, v[60:63] offset:112
	ds_store_b128 v144, v[64:67] offset:224
	ds_store_b128 v143, v[56:59]
	ds_store_b128 v143, v[76:79] offset:112
	ds_store_b128 v143, v[80:83] offset:224
	s_and_saveexec_b32 s0, vcc_lo
	s_cbranch_execz .LBB0_5
; %bb.4:
	v_and_b32_e32 v52, 0xffff, v140
	s_delay_alu instid0(VALU_DEP_1) | instskip(NEXT) | instid1(VALU_DEP_1)
	v_mul_u32_u24_e32 v52, 21, v52
	v_add_nc_u32_e32 v52, v52, v141
	s_delay_alu instid0(VALU_DEP_1)
	v_lshl_add_u32 v52, v52, 4, v139
	ds_store_b128 v52, v[88:91]
	ds_store_b128 v52, v[92:95] offset:112
	ds_store_b128 v52, v[84:87] offset:224
.LBB0_5:
	s_wait_alu 0xfffe
	s_or_b32 exec_lo, exec_lo, s0
	global_wb scope:SCOPE_SE
	s_wait_dscnt 0x0
	s_barrier_signal -1
	s_barrier_wait -1
	global_inv scope:SCOPE_SE
	ds_load_b128 v[96:99], v138
	ds_load_b128 v[108:111], v138 offset:2352
	ds_load_b128 v[104:107], v138 offset:4704
	;; [unrolled: 1-line block ×3, first 2 shown]
	v_add_co_u32 v112, s0, s8, v114
	s_wait_alu 0xf1ff
	v_add_co_ci_u32_e64 v113, null, s9, 0, s0
	v_cmp_gt_u16_e64 s0, 63, v137
	s_delay_alu instid0(VALU_DEP_1)
	s_and_saveexec_b32 s1, s0
	s_cbranch_execz .LBB0_7
; %bb.6:
	ds_load_b128 v[76:79], v138 offset:1344
	ds_load_b128 v[80:83], v138 offset:3696
	;; [unrolled: 1-line block ×4, first 2 shown]
.LBB0_7:
	s_wait_alu 0xfffe
	s_or_b32 exec_lo, exec_lo, s1
	v_mul_lo_u16 v52, 0x87, v118
	s_delay_alu instid0(VALU_DEP_1) | instskip(NEXT) | instid1(VALU_DEP_1)
	v_lshrrev_b16 v52, 8, v52
	v_sub_nc_u16 v53, v137, v52
	s_delay_alu instid0(VALU_DEP_1) | instskip(NEXT) | instid1(VALU_DEP_1)
	v_lshrrev_b16 v53, 1, v53
	v_and_b32_e32 v53, 0x7f, v53
	s_delay_alu instid0(VALU_DEP_1) | instskip(NEXT) | instid1(VALU_DEP_1)
	v_add_nc_u16 v52, v53, v52
	v_lshrrev_b16 v52, 4, v52
	s_delay_alu instid0(VALU_DEP_1) | instskip(NEXT) | instid1(VALU_DEP_1)
	v_and_b32_e32 v128, 15, v52
	v_mul_lo_u16 v52, v128, 21
	s_delay_alu instid0(VALU_DEP_1) | instskip(NEXT) | instid1(VALU_DEP_1)
	v_sub_nc_u16 v52, v137, v52
	v_and_b32_e32 v129, 0xff, v52
	s_delay_alu instid0(VALU_DEP_1)
	v_mad_co_u64_u32 v[52:53], null, v129, 48, s[10:11]
	s_clause 0x2
	global_load_b128 v[72:75], v[52:53], off offset:224
	global_load_b128 v[68:71], v[52:53], off offset:240
	;; [unrolled: 1-line block ×3, first 2 shown]
	v_mul_lo_u16 v52, 0x87, v117
	s_delay_alu instid0(VALU_DEP_1) | instskip(NEXT) | instid1(VALU_DEP_1)
	v_lshrrev_b16 v52, 8, v52
	v_sub_nc_u16 v53, v116, v52
	s_delay_alu instid0(VALU_DEP_1) | instskip(NEXT) | instid1(VALU_DEP_1)
	v_lshrrev_b16 v53, 1, v53
	v_and_b32_e32 v53, 0x7f, v53
	s_delay_alu instid0(VALU_DEP_1) | instskip(NEXT) | instid1(VALU_DEP_1)
	v_add_nc_u16 v52, v53, v52
	v_lshrrev_b16 v52, 4, v52
	s_delay_alu instid0(VALU_DEP_1) | instskip(NEXT) | instid1(VALU_DEP_1)
	v_and_b32_e32 v130, 15, v52
	v_mul_lo_u16 v52, v130, 21
	v_and_b32_e32 v145, 0xffff, v130
	s_delay_alu instid0(VALU_DEP_2) | instskip(NEXT) | instid1(VALU_DEP_1)
	v_sub_nc_u16 v52, v116, v52
	v_and_b32_e32 v142, 0xff, v52
	s_delay_alu instid0(VALU_DEP_1)
	v_mad_co_u64_u32 v[52:53], null, v142, 48, s[10:11]
	s_clause 0x2
	global_load_b128 v[60:63], v[52:53], off offset:224
	global_load_b128 v[56:59], v[52:53], off offset:240
	;; [unrolled: 1-line block ×3, first 2 shown]
	global_wb scope:SCOPE_SE
	s_wait_loadcnt_dscnt 0x0
	s_barrier_signal -1
	s_barrier_wait -1
	global_inv scope:SCOPE_SE
	v_mul_f64_e32 v[116:117], v[110:111], v[74:75]
	v_mul_f64_e32 v[118:119], v[108:109], v[74:75]
	;; [unrolled: 1-line block ×6, first 2 shown]
	v_fma_f64 v[108:109], v[108:109], v[72:73], -v[116:117]
	v_fma_f64 v[110:111], v[110:111], v[72:73], v[118:119]
	v_fma_f64 v[104:105], v[104:105], v[68:69], -v[120:121]
	v_fma_f64 v[106:107], v[106:107], v[68:69], v[122:123]
	;; [unrolled: 2-line block ×3, first 2 shown]
	v_mul_f64_e32 v[116:117], v[82:83], v[62:63]
	v_mul_f64_e32 v[118:119], v[90:91], v[58:59]
	v_mul_f64_e32 v[122:123], v[88:89], v[58:59]
	v_mul_f64_e32 v[124:125], v[92:93], v[54:55]
	v_mul_f64_e32 v[126:127], v[94:95], v[54:55]
	v_add_f64_e64 v[104:105], v[96:97], -v[104:105]
	v_add_f64_e64 v[106:107], v[98:99], -v[106:107]
	;; [unrolled: 1-line block ×4, first 2 shown]
	v_mul_f64_e32 v[102:103], v[80:81], v[62:63]
	v_fma_f64 v[80:81], v[80:81], v[60:61], -v[116:117]
	v_fma_f64 v[88:89], v[88:89], v[56:57], -v[118:119]
	v_fma_f64 v[90:91], v[90:91], v[56:57], v[122:123]
	v_fma_f64 v[94:95], v[94:95], v[52:53], v[124:125]
	v_fma_f64 v[92:93], v[92:93], v[52:53], -v[126:127]
	v_fma_f64 v[116:117], v[96:97], 2.0, -v[104:105]
	v_fma_f64 v[118:119], v[98:99], 2.0, -v[106:107]
	v_fma_f64 v[98:99], v[108:109], 2.0, -v[120:121]
	v_fma_f64 v[108:109], v[110:111], 2.0, -v[100:101]
	v_fma_f64 v[82:83], v[82:83], v[60:61], v[102:103]
	v_add_f64_e64 v[96:97], v[104:105], -v[100:101]
	v_add_f64_e64 v[88:89], v[76:77], -v[88:89]
	;; [unrolled: 1-line block ×6, first 2 shown]
	v_add_f64_e32 v[98:99], v[106:107], v[120:121]
	v_add_f64_e64 v[94:95], v[82:83], -v[94:95]
	v_fma_f64 v[108:109], v[104:105], 2.0, -v[96:97]
	v_and_b32_e32 v120, 0xffff, v128
	s_delay_alu instid0(VALU_DEP_1) | instskip(NEXT) | instid1(VALU_DEP_1)
	v_mul_u32_u24_e32 v120, 0x54, v120
	v_add_nc_u32_e32 v120, v120, v129
	s_delay_alu instid0(VALU_DEP_1)
	v_lshl_add_u32 v146, v120, 4, v139
	v_fma_f64 v[116:117], v[116:117], 2.0, -v[100:101]
	v_fma_f64 v[118:119], v[118:119], 2.0, -v[102:103]
	;; [unrolled: 1-line block ×3, first 2 shown]
	v_add_f64_e64 v[104:105], v[88:89], -v[94:95]
	v_add_f64_e32 v[106:107], v[90:91], v[92:93]
	ds_store_b128 v146, v[116:119]
	ds_store_b128 v146, v[108:111] offset:336
	ds_store_b128 v146, v[100:103] offset:672
	;; [unrolled: 1-line block ×3, first 2 shown]
	s_and_saveexec_b32 s1, s0
	s_cbranch_execz .LBB0_9
; %bb.8:
	v_fma_f64 v[96:97], v[78:79], 2.0, -v[90:91]
	v_fma_f64 v[78:79], v[82:83], 2.0, -v[94:95]
	;; [unrolled: 1-line block ×6, first 2 shown]
	v_mul_u32_u24_e32 v88, 0x54, v145
	s_delay_alu instid0(VALU_DEP_1) | instskip(NEXT) | instid1(VALU_DEP_1)
	v_add_nc_u32_e32 v88, v88, v142
	v_lshl_add_u32 v88, v88, 4, v139
	v_add_f64_e64 v[78:79], v[96:97], -v[78:79]
	v_add_f64_e64 v[76:77], v[94:95], -v[76:77]
	s_delay_alu instid0(VALU_DEP_2) | instskip(NEXT) | instid1(VALU_DEP_2)
	v_fma_f64 v[92:93], v[96:97], 2.0, -v[78:79]
	v_fma_f64 v[90:91], v[94:95], 2.0, -v[76:77]
	ds_store_b128 v88, v[90:93]
	ds_store_b128 v88, v[80:83] offset:336
	ds_store_b128 v88, v[76:79] offset:672
	;; [unrolled: 1-line block ×3, first 2 shown]
.LBB0_9:
	s_wait_alu 0xfffe
	s_or_b32 exec_lo, exec_lo, s1
	v_mad_co_u64_u32 v[92:93], null, 0x60, v137, s[10:11]
	global_wb scope:SCOPE_SE
	s_wait_dscnt 0x0
	s_barrier_signal -1
	s_barrier_wait -1
	global_inv scope:SCOPE_SE
	s_mov_b32 s12, 0x37e14327
	s_mov_b32 s13, 0x3fe948f6
	s_clause 0x5
	global_load_b128 v[80:83], v[92:93], off offset:1232
	global_load_b128 v[76:79], v[92:93], off offset:1248
	global_load_b128 v[88:91], v[92:93], off offset:1312
	global_load_b128 v[100:103], v[92:93], off offset:1296
	global_load_b128 v[96:99], v[92:93], off offset:1264
	global_load_b128 v[92:95], v[92:93], off offset:1280
	ds_load_b128 v[108:111], v138 offset:1344
	ds_load_b128 v[116:119], v138 offset:2688
	;; [unrolled: 1-line block ×6, first 2 shown]
	s_mov_b32 s15, 0xbfe11646
	s_mov_b32 s14, 0xe976ee23
	;; [unrolled: 1-line block ×12, first 2 shown]
	s_wait_alu 0xfffe
	s_mov_b32 s30, s10
	s_mov_b32 s21, 0x3fe77f67
	;; [unrolled: 1-line block ×8, first 2 shown]
	s_add_nc_u64 s[8:9], s[8:9], 0x24c0
	s_wait_loadcnt_dscnt 0x505
	v_mul_f64_e32 v[147:148], v[110:111], v[82:83]
	v_mul_f64_e32 v[149:150], v[108:109], v[82:83]
	s_wait_loadcnt_dscnt 0x404
	v_mul_f64_e32 v[151:152], v[118:119], v[78:79]
	v_mul_f64_e32 v[153:154], v[116:117], v[78:79]
	;; [unrolled: 3-line block ×6, first 2 shown]
	v_fma_f64 v[108:109], v[108:109], v[80:81], -v[147:148]
	v_fma_f64 v[110:111], v[110:111], v[80:81], v[149:150]
	v_fma_f64 v[116:117], v[116:117], v[76:77], -v[151:152]
	v_fma_f64 v[118:119], v[118:119], v[76:77], v[153:154]
	;; [unrolled: 2-line block ×6, first 2 shown]
	v_add_f64_e32 v[147:148], v[108:109], v[120:121]
	v_add_f64_e32 v[149:150], v[110:111], v[122:123]
	;; [unrolled: 1-line block ×4, first 2 shown]
	v_add_f64_e64 v[116:117], v[116:117], -v[124:125]
	v_add_f64_e64 v[118:119], v[118:119], -v[126:127]
	v_add_f64_e32 v[124:125], v[128:129], v[132:133]
	v_add_f64_e32 v[126:127], v[130:131], v[134:135]
	v_add_f64_e64 v[128:129], v[132:133], -v[128:129]
	v_add_f64_e64 v[130:131], v[134:135], -v[130:131]
	v_add_f64_e64 v[120:121], v[108:109], -v[120:121]
	v_add_f64_e64 v[122:123], v[110:111], -v[122:123]
	v_add_f64_e32 v[108:109], v[151:152], v[147:148]
	v_add_f64_e32 v[110:111], v[153:154], v[149:150]
	v_add_f64_e64 v[132:133], v[147:148], -v[124:125]
	v_add_f64_e64 v[134:135], v[149:150], -v[126:127]
	;; [unrolled: 1-line block ×6, first 2 shown]
	v_add_f64_e32 v[116:117], v[128:129], v[116:117]
	v_add_f64_e32 v[118:119], v[130:131], v[118:119]
	v_add_f64_e64 v[128:129], v[120:121], -v[128:129]
	v_add_f64_e64 v[130:131], v[122:123], -v[130:131]
	;; [unrolled: 1-line block ×4, first 2 shown]
	v_add_f64_e32 v[163:164], v[124:125], v[108:109]
	v_add_f64_e32 v[165:166], v[126:127], v[110:111]
	v_add_f64_e64 v[124:125], v[124:125], -v[151:152]
	v_add_f64_e64 v[126:127], v[126:127], -v[153:154]
	ds_load_b128 v[108:111], v138
	v_mul_f64_e32 v[132:133], s[12:13], v[132:133]
	v_mul_f64_e32 v[134:135], s[12:13], v[134:135]
	;; [unrolled: 1-line block ×6, first 2 shown]
	v_add_f64_e32 v[116:117], v[116:117], v[120:121]
	v_add_f64_e32 v[118:119], v[118:119], v[122:123]
	s_mov_b32 s15, 0x3fe11646
	s_wait_dscnt 0x0
	v_add_f64_e32 v[108:109], v[108:109], v[163:164]
	v_add_f64_e32 v[110:111], v[110:111], v[165:166]
	v_mul_f64_e32 v[151:152], s[16:17], v[124:125]
	v_mul_f64_e32 v[153:154], s[16:17], v[126:127]
	v_fma_f64 v[120:121], v[124:125], s[16:17], v[132:133]
	v_fma_f64 v[122:123], v[126:127], s[16:17], v[134:135]
	;; [unrolled: 1-line block ×4, first 2 shown]
	v_fma_f64 v[155:156], v[159:160], s[30:31], -v[155:156]
	v_fma_f64 v[157:158], v[161:162], s[30:31], -v[157:158]
	v_fma_f64 v[128:129], v[128:129], s[26:27], v[167:168]
	v_fma_f64 v[130:131], v[130:131], s[26:27], v[169:170]
	v_fma_f64 v[132:133], v[147:148], s[22:23], -v[132:133]
	v_fma_f64 v[134:135], v[149:150], s[22:23], -v[134:135]
	v_fma_f64 v[159:160], v[163:164], s[18:19], v[108:109]
	v_fma_f64 v[161:162], v[165:166], s[18:19], v[110:111]
	;; [unrolled: 4-line block ×3, first 2 shown]
	v_fma_f64 v[155:156], v[116:117], s[28:29], v[155:156]
	v_fma_f64 v[157:158], v[118:119], s[28:29], v[157:158]
	;; [unrolled: 1-line block ×4, first 2 shown]
	s_mov_b32 s29, 0xbfdc38aa
	v_add_f64_e32 v[167:168], v[120:121], v[159:160]
	v_add_f64_e32 v[169:170], v[122:123], v[161:162]
	;; [unrolled: 1-line block ×7, first 2 shown]
	v_add_f64_e64 v[118:119], v[169:170], -v[151:152]
	v_add_f64_e32 v[120:121], v[165:166], v[132:133]
	v_add_f64_e64 v[122:123], v[134:135], -v[163:164]
	v_add_f64_e64 v[124:125], v[128:129], -v[157:158]
	v_add_f64_e32 v[126:127], v[155:156], v[130:131]
	v_add_f64_e32 v[128:129], v[157:158], v[128:129]
	v_add_f64_e64 v[130:131], v[130:131], -v[155:156]
	v_add_f64_e64 v[132:133], v[132:133], -v[165:166]
	v_add_f64_e32 v[134:135], v[163:164], v[134:135]
	v_add_f64_e64 v[147:148], v[167:168], -v[153:154]
	v_add_f64_e32 v[149:150], v[151:152], v[169:170]
	ds_store_b128 v138, v[108:111]
	ds_store_b128 v138, v[116:119] offset:1344
	ds_store_b128 v138, v[120:123] offset:2688
	;; [unrolled: 1-line block ×6, first 2 shown]
	global_wb scope:SCOPE_SE
	s_wait_dscnt 0x0
	s_barrier_signal -1
	s_barrier_wait -1
	global_inv scope:SCOPE_SE
	s_clause 0x6
	global_load_b128 v[108:111], v[112:113], off offset:9408
	global_load_b128 v[116:119], v114, s[8:9] offset:1344
	global_load_b128 v[120:123], v114, s[8:9] offset:2688
	;; [unrolled: 1-line block ×6, first 2 shown]
	ds_load_b128 v[151:154], v138
	ds_load_b128 v[155:158], v138 offset:1344
	ds_load_b128 v[159:162], v138 offset:2688
	;; [unrolled: 1-line block ×6, first 2 shown]
	s_wait_loadcnt_dscnt 0x606
	v_mul_f64_e32 v[112:113], v[153:154], v[110:111]
	v_mul_f64_e32 v[179:180], v[151:152], v[110:111]
	s_wait_loadcnt_dscnt 0x505
	v_mul_f64_e32 v[181:182], v[157:158], v[118:119]
	v_mul_f64_e32 v[118:119], v[155:156], v[118:119]
	;; [unrolled: 3-line block ×7, first 2 shown]
	v_fma_f64 v[110:111], v[151:152], v[108:109], -v[112:113]
	v_fma_f64 v[112:113], v[153:154], v[108:109], v[179:180]
	v_fma_f64 v[149:150], v[155:156], v[116:117], -v[181:182]
	v_fma_f64 v[151:152], v[157:158], v[116:117], v[118:119]
	;; [unrolled: 2-line block ×7, first 2 shown]
	ds_store_b128 v138, v[110:113]
	ds_store_b128 v138, v[149:152] offset:1344
	ds_store_b128 v138, v[116:119] offset:2688
	;; [unrolled: 1-line block ×6, first 2 shown]
	global_wb scope:SCOPE_SE
	s_wait_dscnt 0x0
	s_barrier_signal -1
	s_barrier_wait -1
	global_inv scope:SCOPE_SE
	ds_load_b128 v[108:111], v138 offset:1344
	ds_load_b128 v[116:119], v138 offset:8064
	;; [unrolled: 1-line block ×6, first 2 shown]
	s_wait_dscnt 0x4
	v_add_f64_e32 v[112:113], v[108:109], v[116:117]
	v_add_f64_e32 v[147:148], v[110:111], v[118:119]
	s_wait_dscnt 0x2
	v_add_f64_e32 v[149:150], v[124:125], v[120:121]
	v_add_f64_e32 v[151:152], v[126:127], v[122:123]
	v_add_f64_e64 v[120:121], v[124:125], -v[120:121]
	v_add_f64_e64 v[122:123], v[126:127], -v[122:123]
	s_wait_dscnt 0x0
	v_add_f64_e32 v[124:125], v[128:129], v[132:133]
	v_add_f64_e32 v[126:127], v[130:131], v[134:135]
	v_add_f64_e64 v[128:129], v[132:133], -v[128:129]
	v_add_f64_e64 v[130:131], v[134:135], -v[130:131]
	v_add_f64_e64 v[132:133], v[108:109], -v[116:117]
	v_add_f64_e64 v[134:135], v[110:111], -v[118:119]
	v_add_f64_e32 v[108:109], v[149:150], v[112:113]
	v_add_f64_e32 v[110:111], v[151:152], v[147:148]
	v_add_f64_e64 v[116:117], v[112:113], -v[124:125]
	v_add_f64_e64 v[118:119], v[147:148], -v[126:127]
	;; [unrolled: 1-line block ×6, first 2 shown]
	v_add_f64_e32 v[120:121], v[128:129], v[120:121]
	v_add_f64_e32 v[122:123], v[130:131], v[122:123]
	v_add_f64_e64 v[128:129], v[132:133], -v[128:129]
	v_add_f64_e64 v[130:131], v[134:135], -v[130:131]
	v_add_f64_e32 v[161:162], v[124:125], v[108:109]
	v_add_f64_e32 v[163:164], v[126:127], v[110:111]
	v_add_f64_e64 v[124:125], v[124:125], -v[149:150]
	v_add_f64_e64 v[126:127], v[126:127], -v[151:152]
	ds_load_b128 v[108:111], v138
	v_mul_f64_e32 v[165:166], s[12:13], v[116:117]
	v_mul_f64_e32 v[167:168], s[12:13], v[118:119]
	s_wait_alu 0xfffe
	v_mul_f64_e32 v[153:154], s[14:15], v[153:154]
	v_mul_f64_e32 v[155:156], s[14:15], v[155:156]
	v_mul_f64_e32 v[169:170], s[30:31], v[157:158]
	v_mul_f64_e32 v[171:172], s[30:31], v[159:160]
	v_add_f64_e32 v[120:121], v[120:121], v[132:133]
	v_add_f64_e32 v[122:123], v[122:123], v[134:135]
	global_wb scope:SCOPE_SE
	s_wait_dscnt 0x0
	s_barrier_signal -1
	s_barrier_wait -1
	global_inv scope:SCOPE_SE
	v_add_f64_e32 v[116:117], v[108:109], v[161:162]
	v_add_f64_e32 v[118:119], v[110:111], v[163:164]
	v_add_f64_e64 v[108:109], v[149:150], -v[112:113]
	v_add_f64_e64 v[110:111], v[151:152], -v[147:148]
	v_mul_f64_e32 v[112:113], s[16:17], v[124:125]
	v_mul_f64_e32 v[147:148], s[16:17], v[126:127]
	v_fma_f64 v[124:125], v[124:125], s[16:17], v[165:166]
	v_fma_f64 v[126:127], v[126:127], s[16:17], v[167:168]
	;; [unrolled: 1-line block ×4, first 2 shown]
	v_fma_f64 v[149:150], v[157:158], s[10:11], -v[153:154]
	v_fma_f64 v[151:152], v[159:160], s[10:11], -v[155:156]
	v_fma_f64 v[128:129], v[128:129], s[24:25], v[169:170]
	v_fma_f64 v[130:131], v[130:131], s[24:25], v[171:172]
	;; [unrolled: 1-line block ×4, first 2 shown]
	v_fma_f64 v[157:158], v[108:109], s[22:23], -v[165:166]
	v_fma_f64 v[159:160], v[110:111], s[22:23], -v[167:168]
	;; [unrolled: 1-line block ×4, first 2 shown]
	v_fma_f64 v[112:113], v[120:121], s[28:29], v[132:133]
	v_fma_f64 v[161:162], v[122:123], s[28:29], v[134:135]
	;; [unrolled: 1-line block ×6, first 2 shown]
	v_add_f64_e32 v[151:152], v[124:125], v[153:154]
	v_add_f64_e32 v[163:164], v[126:127], v[155:156]
	;; [unrolled: 1-line block ×7, first 2 shown]
	v_add_f64_e64 v[122:123], v[163:164], -v[112:113]
	v_add_f64_e32 v[124:125], v[157:158], v[147:148]
	v_add_f64_e64 v[126:127], v[159:160], -v[149:150]
	v_add_f64_e64 v[128:129], v[108:109], -v[132:133]
	v_add_f64_e32 v[130:131], v[134:135], v[110:111]
	v_add_f64_e32 v[132:133], v[108:109], v[132:133]
	v_add_f64_e64 v[134:135], v[110:111], -v[134:135]
	v_add_f64_e64 v[147:148], v[157:158], -v[147:148]
	v_add_f64_e32 v[149:150], v[149:150], v[159:160]
	v_add_f64_e64 v[108:109], v[151:152], -v[161:162]
	v_add_f64_e32 v[110:111], v[112:113], v[163:164]
	ds_store_b128 v115, v[116:119]
	ds_store_b128 v115, v[120:123] offset:16
	ds_store_b128 v115, v[124:127] offset:32
	;; [unrolled: 1-line block ×6, first 2 shown]
	global_wb scope:SCOPE_SE
	s_wait_dscnt 0x0
	s_barrier_signal -1
	s_barrier_wait -1
	global_inv scope:SCOPE_SE
	ds_load_b128 v[116:119], v138
	ds_load_b128 v[112:115], v138 offset:1344
	ds_load_b128 v[128:131], v138 offset:3136
	;; [unrolled: 1-line block ×5, first 2 shown]
	s_and_saveexec_b32 s1, vcc_lo
	s_cbranch_execz .LBB0_11
; %bb.10:
	ds_load_b128 v[108:111], v138 offset:2688
	ds_load_b128 v[104:107], v138 offset:5824
	;; [unrolled: 1-line block ×3, first 2 shown]
.LBB0_11:
	s_wait_alu 0xfffe
	s_or_b32 exec_lo, exec_lo, s1
	s_wait_dscnt 0x3
	v_mul_f64_e32 v[147:148], v[42:43], v[130:131]
	v_mul_f64_e32 v[42:43], v[42:43], v[128:129]
	s_wait_dscnt 0x1
	v_mul_f64_e32 v[149:150], v[34:35], v[134:135]
	v_mul_f64_e32 v[34:35], v[34:35], v[132:133]
	;; [unrolled: 1-line block ×4, first 2 shown]
	s_wait_dscnt 0x0
	v_mul_f64_e32 v[153:154], v[30:31], v[126:127]
	v_mul_f64_e32 v[30:31], v[30:31], v[124:125]
	v_mul_f64_e32 v[155:156], v[50:51], v[106:107]
	v_mul_f64_e32 v[50:51], v[50:51], v[104:105]
	v_mul_f64_e32 v[157:158], v[46:47], v[86:87]
	v_mul_f64_e32 v[46:47], v[46:47], v[84:85]
	s_mov_b32 s10, 0xe8584caa
	s_mov_b32 s11, 0xbfebb67a
	;; [unrolled: 1-line block ×3, first 2 shown]
	s_wait_alu 0xfffe
	s_mov_b32 s8, s10
	global_wb scope:SCOPE_SE
	s_barrier_signal -1
	s_barrier_wait -1
	global_inv scope:SCOPE_SE
	v_fma_f64 v[128:129], v[40:41], v[128:129], v[147:148]
	v_fma_f64 v[40:41], v[40:41], v[130:131], -v[42:43]
	v_fma_f64 v[42:43], v[32:33], v[132:133], v[149:150]
	v_fma_f64 v[32:33], v[32:33], v[134:135], -v[34:35]
	;; [unrolled: 2-line block ×6, first 2 shown]
	v_add_f64_e32 v[106:107], v[116:117], v[128:129]
	v_add_f64_e32 v[44:45], v[128:129], v[42:43]
	;; [unrolled: 1-line block ×3, first 2 shown]
	v_add_f64_e64 v[124:125], v[40:41], -v[32:33]
	v_add_f64_e32 v[40:41], v[118:119], v[40:41]
	v_add_f64_e32 v[50:51], v[34:35], v[38:39]
	v_add_f64_e32 v[84:85], v[36:37], v[28:29]
	v_add_f64_e64 v[126:127], v[128:129], -v[42:43]
	v_add_f64_e32 v[128:129], v[112:113], v[34:35]
	v_add_f64_e32 v[86:87], v[30:31], v[120:121]
	;; [unrolled: 1-line block ×6, first 2 shown]
	v_add_f64_e64 v[147:148], v[36:37], -v[28:29]
	v_add_f64_e64 v[34:35], v[34:35], -v[38:39]
	v_fma_f64 v[116:117], v[44:45], -0.5, v[116:117]
	v_fma_f64 v[118:119], v[46:47], -0.5, v[118:119]
	v_add_f64_e64 v[46:47], v[48:49], -v[122:123]
	v_fma_f64 v[149:150], v[50:51], -0.5, v[112:113]
	v_fma_f64 v[151:152], v[84:85], -0.5, v[114:115]
	v_add_f64_e64 v[50:51], v[30:31], -v[120:121]
	v_add_f64_e32 v[84:85], v[106:107], v[42:43]
	v_fma_f64 v[44:45], v[86:87], -0.5, v[108:109]
	v_fma_f64 v[48:49], v[104:105], -0.5, v[110:111]
	v_add_f64_e32 v[86:87], v[40:41], v[32:33]
	v_add_f64_e32 v[104:105], v[128:129], v[38:39]
	;; [unrolled: 1-line block ×5, first 2 shown]
	v_fma_f64 v[108:109], v[124:125], s[10:11], v[116:117]
	s_wait_alu 0xfffe
	v_fma_f64 v[110:111], v[126:127], s[8:9], v[118:119]
	v_fma_f64 v[112:113], v[124:125], s[8:9], v[116:117]
	;; [unrolled: 1-line block ×9, first 2 shown]
	ds_store_b128 v144, v[84:87]
	ds_store_b128 v144, v[108:111] offset:112
	ds_store_b128 v144, v[112:115] offset:224
	ds_store_b128 v143, v[104:107]
	ds_store_b128 v143, v[28:31] offset:112
	ds_store_b128 v143, v[32:35] offset:224
	s_and_saveexec_b32 s1, vcc_lo
	s_cbranch_execz .LBB0_13
; %bb.12:
	v_mul_f64_e32 v[50:51], s[8:9], v[50:51]
	v_mul_f64_e32 v[84:85], s[8:9], v[46:47]
	s_delay_alu instid0(VALU_DEP_2) | instskip(NEXT) | instid1(VALU_DEP_2)
	v_add_f64_e64 v[46:47], v[48:49], -v[50:51]
	v_add_f64_e32 v[44:45], v[84:85], v[44:45]
	v_and_b32_e32 v48, 0xffff, v140
	s_delay_alu instid0(VALU_DEP_1) | instskip(NEXT) | instid1(VALU_DEP_1)
	v_mul_u32_u24_e32 v48, 21, v48
	v_add_nc_u32_e32 v48, v48, v141
	s_delay_alu instid0(VALU_DEP_1)
	v_lshl_add_u32 v48, v48, 4, v139
	ds_store_b128 v48, v[36:39]
	ds_store_b128 v48, v[40:43] offset:112
	ds_store_b128 v48, v[44:47] offset:224
.LBB0_13:
	s_wait_alu 0xfffe
	s_or_b32 exec_lo, exec_lo, s1
	global_wb scope:SCOPE_SE
	s_wait_dscnt 0x0
	s_barrier_signal -1
	s_barrier_wait -1
	global_inv scope:SCOPE_SE
	ds_load_b128 v[44:47], v138
	ds_load_b128 v[104:107], v138 offset:2352
	ds_load_b128 v[84:87], v138 offset:4704
	;; [unrolled: 1-line block ×3, first 2 shown]
	s_and_saveexec_b32 s1, s0
	s_cbranch_execz .LBB0_15
; %bb.14:
	ds_load_b128 v[28:31], v138 offset:1344
	ds_load_b128 v[32:35], v138 offset:3696
	;; [unrolled: 1-line block ×4, first 2 shown]
.LBB0_15:
	s_wait_alu 0xfffe
	s_or_b32 exec_lo, exec_lo, s1
	s_wait_dscnt 0x2
	v_mul_f64_e32 v[108:109], v[74:75], v[106:107]
	v_mul_f64_e32 v[74:75], v[74:75], v[104:105]
	s_wait_dscnt 0x1
	v_mul_f64_e32 v[110:111], v[70:71], v[86:87]
	v_mul_f64_e32 v[70:71], v[70:71], v[84:85]
	;; [unrolled: 3-line block ×3, first 2 shown]
	global_wb scope:SCOPE_SE
	s_barrier_signal -1
	s_barrier_wait -1
	global_inv scope:SCOPE_SE
	v_fma_f64 v[104:105], v[72:73], v[104:105], v[108:109]
	v_fma_f64 v[72:73], v[72:73], v[106:107], -v[74:75]
	v_fma_f64 v[74:75], v[68:69], v[84:85], v[110:111]
	v_fma_f64 v[68:69], v[68:69], v[86:87], -v[70:71]
	;; [unrolled: 2-line block ×3, first 2 shown]
	s_delay_alu instid0(VALU_DEP_4) | instskip(NEXT) | instid1(VALU_DEP_4)
	v_add_f64_e64 v[64:65], v[44:45], -v[74:75]
	v_add_f64_e64 v[66:67], v[46:47], -v[68:69]
	s_delay_alu instid0(VALU_DEP_4) | instskip(NEXT) | instid1(VALU_DEP_4)
	v_add_f64_e64 v[68:69], v[104:105], -v[48:49]
	v_add_f64_e64 v[48:49], v[72:73], -v[50:51]
	s_delay_alu instid0(VALU_DEP_4) | instskip(NEXT) | instid1(VALU_DEP_4)
	v_fma_f64 v[70:71], v[44:45], 2.0, -v[64:65]
	v_fma_f64 v[74:75], v[46:47], 2.0, -v[66:67]
	s_delay_alu instid0(VALU_DEP_4) | instskip(NEXT) | instid1(VALU_DEP_4)
	v_fma_f64 v[46:47], v[104:105], 2.0, -v[68:69]
	v_fma_f64 v[50:51], v[72:73], 2.0, -v[48:49]
	v_add_f64_e32 v[44:45], v[64:65], v[48:49]
	s_delay_alu instid0(VALU_DEP_3) | instskip(NEXT) | instid1(VALU_DEP_3)
	v_add_f64_e64 v[48:49], v[70:71], -v[46:47]
	v_add_f64_e64 v[50:51], v[74:75], -v[50:51]
	;; [unrolled: 1-line block ×3, first 2 shown]
	s_delay_alu instid0(VALU_DEP_4) | instskip(NEXT) | instid1(VALU_DEP_4)
	v_fma_f64 v[64:65], v[64:65], 2.0, -v[44:45]
	v_fma_f64 v[68:69], v[70:71], 2.0, -v[48:49]
	s_delay_alu instid0(VALU_DEP_4) | instskip(NEXT) | instid1(VALU_DEP_4)
	v_fma_f64 v[70:71], v[74:75], 2.0, -v[50:51]
	v_fma_f64 v[66:67], v[66:67], 2.0, -v[46:47]
	ds_store_b128 v146, v[68:71]
	ds_store_b128 v146, v[64:67] offset:336
	ds_store_b128 v146, v[48:51] offset:672
	;; [unrolled: 1-line block ×3, first 2 shown]
	s_and_saveexec_b32 s1, s0
	s_cbranch_execz .LBB0_17
; %bb.16:
	v_mul_f64_e32 v[44:45], v[58:59], v[36:37]
	v_mul_f64_e32 v[46:47], v[62:63], v[34:35]
	;; [unrolled: 1-line block ×6, first 2 shown]
	v_fma_f64 v[38:39], v[56:57], v[38:39], -v[44:45]
	v_fma_f64 v[32:33], v[60:61], v[32:33], v[46:47]
	v_fma_f64 v[34:35], v[60:61], v[34:35], -v[48:49]
	v_fma_f64 v[42:43], v[52:53], v[42:43], -v[50:51]
	v_fma_f64 v[36:37], v[56:57], v[36:37], v[58:59]
	v_fma_f64 v[40:41], v[52:53], v[40:41], v[54:55]
	v_add_f64_e64 v[38:39], v[30:31], -v[38:39]
	s_delay_alu instid0(VALU_DEP_4) | instskip(NEXT) | instid1(VALU_DEP_4)
	v_add_f64_e64 v[42:43], v[34:35], -v[42:43]
	v_add_f64_e64 v[36:37], v[28:29], -v[36:37]
	s_delay_alu instid0(VALU_DEP_4) | instskip(NEXT) | instid1(VALU_DEP_4)
	v_add_f64_e64 v[40:41], v[32:33], -v[40:41]
	v_fma_f64 v[44:45], v[30:31], 2.0, -v[38:39]
	s_delay_alu instid0(VALU_DEP_4) | instskip(NEXT) | instid1(VALU_DEP_4)
	v_fma_f64 v[34:35], v[34:35], 2.0, -v[42:43]
	v_fma_f64 v[46:47], v[28:29], 2.0, -v[36:37]
	s_delay_alu instid0(VALU_DEP_4) | instskip(SKIP_1) | instid1(VALU_DEP_4)
	v_fma_f64 v[28:29], v[32:33], 2.0, -v[40:41]
	v_add_f64_e64 v[30:31], v[38:39], -v[40:41]
	v_add_f64_e64 v[34:35], v[44:45], -v[34:35]
	s_delay_alu instid0(VALU_DEP_3) | instskip(SKIP_1) | instid1(VALU_DEP_4)
	v_add_f64_e64 v[32:33], v[46:47], -v[28:29]
	v_add_f64_e32 v[28:29], v[36:37], v[42:43]
	v_fma_f64 v[38:39], v[38:39], 2.0, -v[30:31]
	s_delay_alu instid0(VALU_DEP_4) | instskip(SKIP_3) | instid1(VALU_DEP_3)
	v_fma_f64 v[42:43], v[44:45], 2.0, -v[34:35]
	v_mul_u32_u24_e32 v44, 0x54, v145
	v_fma_f64 v[40:41], v[46:47], 2.0, -v[32:33]
	v_fma_f64 v[36:37], v[36:37], 2.0, -v[28:29]
	v_add_nc_u32_e32 v44, v44, v142
	s_delay_alu instid0(VALU_DEP_1)
	v_lshl_add_u32 v44, v44, 4, v139
	ds_store_b128 v44, v[40:43]
	ds_store_b128 v44, v[36:39] offset:336
	ds_store_b128 v44, v[32:35] offset:672
	;; [unrolled: 1-line block ×3, first 2 shown]
.LBB0_17:
	s_wait_alu 0xfffe
	s_or_b32 exec_lo, exec_lo, s1
	global_wb scope:SCOPE_SE
	s_wait_dscnt 0x0
	s_barrier_signal -1
	s_barrier_wait -1
	global_inv scope:SCOPE_SE
	ds_load_b128 v[28:31], v138 offset:1344
	ds_load_b128 v[32:35], v138 offset:2688
	ds_load_b128 v[36:39], v138 offset:8064
	ds_load_b128 v[40:43], v138 offset:6720
	ds_load_b128 v[44:47], v138 offset:4032
	ds_load_b128 v[48:51], v138 offset:5376
	s_mov_b32 s0, 0x37e14327
	s_mov_b32 s1, 0x3fe948f6
	s_mov_b32 s8, 0x36b3c0b5
	s_mov_b32 s10, 0xe976ee23
	s_mov_b32 s9, 0x3fac98ee
	s_mov_b32 s11, 0x3fe11646
	s_mov_b32 s13, 0x3fe77f67
	s_mov_b32 s12, 0x5476071b
	s_mov_b32 s15, 0xbfd5d0dc
	s_mov_b32 s14, 0xb247c609
	s_wait_dscnt 0x5
	v_mul_f64_e32 v[52:53], v[82:83], v[30:31]
	v_mul_f64_e32 v[54:55], v[82:83], v[28:29]
	s_wait_dscnt 0x4
	v_mul_f64_e32 v[56:57], v[78:79], v[34:35]
	v_mul_f64_e32 v[58:59], v[78:79], v[32:33]
	;; [unrolled: 3-line block ×6, first 2 shown]
	v_fma_f64 v[28:29], v[80:81], v[28:29], v[52:53]
	v_fma_f64 v[30:31], v[80:81], v[30:31], -v[54:55]
	v_fma_f64 v[32:33], v[76:77], v[32:33], v[56:57]
	v_fma_f64 v[34:35], v[76:77], v[34:35], -v[58:59]
	;; [unrolled: 2-line block ×6, first 2 shown]
	v_add_f64_e32 v[52:53], v[28:29], v[36:37]
	v_add_f64_e32 v[54:55], v[30:31], v[38:39]
	v_add_f64_e32 v[56:57], v[32:33], v[40:41]
	v_add_f64_e32 v[58:59], v[34:35], v[42:43]
	v_add_f64_e64 v[32:33], v[32:33], -v[40:41]
	v_add_f64_e64 v[34:35], v[34:35], -v[42:43]
	v_add_f64_e32 v[60:61], v[44:45], v[48:49]
	v_add_f64_e32 v[62:63], v[46:47], v[50:51]
	v_add_f64_e64 v[40:41], v[48:49], -v[44:45]
	v_add_f64_e64 v[42:43], v[50:51], -v[46:47]
	;; [unrolled: 1-line block ×4, first 2 shown]
	v_add_f64_e32 v[28:29], v[56:57], v[52:53]
	v_add_f64_e32 v[30:31], v[58:59], v[54:55]
	v_add_f64_e64 v[44:45], v[52:53], -v[60:61]
	v_add_f64_e64 v[46:47], v[54:55], -v[62:63]
	v_add_f64_e64 v[48:49], v[60:61], -v[56:57]
	v_add_f64_e64 v[50:51], v[62:63], -v[58:59]
	v_add_f64_e64 v[64:65], v[40:41], -v[32:33]
	v_add_f64_e64 v[66:67], v[42:43], -v[34:35]
	v_add_f64_e64 v[68:69], v[32:33], -v[36:37]
	v_add_f64_e64 v[70:71], v[34:35], -v[38:39]
	v_add_f64_e64 v[52:53], v[56:57], -v[52:53]
	v_add_f64_e64 v[54:55], v[58:59], -v[54:55]
	v_add_f64_e32 v[32:33], v[40:41], v[32:33]
	v_add_f64_e32 v[34:35], v[42:43], v[34:35]
	v_add_f64_e64 v[40:41], v[36:37], -v[40:41]
	v_add_f64_e64 v[42:43], v[38:39], -v[42:43]
	v_add_f64_e32 v[60:61], v[60:61], v[28:29]
	v_add_f64_e32 v[62:63], v[62:63], v[30:31]
	ds_load_b128 v[28:31], v138
	s_wait_alu 0xfffe
	v_mul_f64_e32 v[44:45], s[0:1], v[44:45]
	v_mul_f64_e32 v[46:47], s[0:1], v[46:47]
	s_mov_b32 s0, 0x429ad128
	v_mul_f64_e32 v[56:57], s[8:9], v[48:49]
	v_mul_f64_e32 v[58:59], s[8:9], v[50:51]
	;; [unrolled: 1-line block ×4, first 2 shown]
	s_mov_b32 s1, 0xbfebfeb5
	s_mov_b32 s10, 0xaaaaaaaa
	s_wait_alu 0xfffe
	v_mul_f64_e32 v[72:73], s[0:1], v[68:69]
	v_mul_f64_e32 v[74:75], s[0:1], v[70:71]
	s_mov_b32 s11, 0xbff2aaaa
	v_add_f64_e32 v[32:33], v[32:33], v[36:37]
	v_add_f64_e32 v[34:35], v[34:35], v[38:39]
	s_wait_dscnt 0x0
	v_add_f64_e32 v[28:29], v[28:29], v[60:61]
	v_add_f64_e32 v[30:31], v[30:31], v[62:63]
	v_fma_f64 v[36:37], v[48:49], s[8:9], v[44:45]
	v_fma_f64 v[38:39], v[50:51], s[8:9], v[46:47]
	v_fma_f64 v[48:49], v[52:53], s[12:13], -v[56:57]
	v_fma_f64 v[50:51], v[54:55], s[12:13], -v[58:59]
	s_mov_b32 s13, 0xbfe77f67
	v_fma_f64 v[56:57], v[40:41], s[14:15], v[64:65]
	v_fma_f64 v[58:59], v[42:43], s[14:15], v[66:67]
	s_mov_b32 s15, 0x3fd5d0dc
	v_fma_f64 v[64:65], v[68:69], s[0:1], -v[64:65]
	v_fma_f64 v[66:67], v[70:71], s[0:1], -v[66:67]
	s_wait_alu 0xfffe
	v_fma_f64 v[40:41], v[40:41], s[14:15], -v[72:73]
	v_fma_f64 v[42:43], v[42:43], s[14:15], -v[74:75]
	;; [unrolled: 1-line block ×4, first 2 shown]
	s_mov_b32 s0, 0x37c3f68c
	s_mov_b32 s1, 0xbfdc38aa
	v_fma_f64 v[60:61], v[60:61], s[10:11], v[28:29]
	v_fma_f64 v[62:63], v[62:63], s[10:11], v[30:31]
	s_wait_alu 0xfffe
	v_fma_f64 v[54:55], v[32:33], s[0:1], v[56:57]
	v_fma_f64 v[52:53], v[34:35], s[0:1], v[58:59]
	;; [unrolled: 1-line block ×6, first 2 shown]
	s_mov_b32 s0, 0x899406f7
	s_mov_b32 s1, 0x3f5bdd2b
	v_add_f64_e32 v[68:69], v[36:37], v[60:61]
	v_add_f64_e32 v[70:71], v[38:39], v[62:63]
	;; [unrolled: 1-line block ×7, first 2 shown]
	v_add_f64_e64 v[34:35], v[70:71], -v[54:55]
	v_add_f64_e32 v[36:37], v[66:67], v[72:73]
	v_add_f64_e64 v[38:39], v[74:75], -v[64:65]
	v_add_f64_e64 v[40:41], v[44:45], -v[58:59]
	v_add_f64_e32 v[42:43], v[56:57], v[46:47]
	v_add_f64_e32 v[44:45], v[58:59], v[44:45]
	v_add_f64_e64 v[46:47], v[46:47], -v[56:57]
	v_add_f64_e64 v[48:49], v[72:73], -v[66:67]
	v_add_f64_e32 v[50:51], v[64:65], v[74:75]
	v_add_f64_e64 v[52:53], v[68:69], -v[52:53]
	v_add_f64_e32 v[54:55], v[54:55], v[70:71]
	v_mad_co_u64_u32 v[70:71], null, s6, v136, 0
	v_mad_co_u64_u32 v[72:73], null, s4, v137, 0
	ds_store_b128 v138, v[28:31]
	ds_store_b128 v138, v[32:35] offset:1344
	ds_store_b128 v138, v[36:39] offset:2688
	;; [unrolled: 1-line block ×6, first 2 shown]
	global_wb scope:SCOPE_SE
	s_wait_dscnt 0x0
	s_barrier_signal -1
	s_barrier_wait -1
	global_inv scope:SCOPE_SE
	ds_load_b128 v[28:31], v138
	ds_load_b128 v[32:35], v138 offset:1344
	ds_load_b128 v[36:39], v138 offset:2688
	ds_load_b128 v[40:43], v138 offset:4032
	ds_load_b128 v[44:47], v138 offset:5376
	ds_load_b128 v[48:51], v138 offset:6720
	ds_load_b128 v[52:55], v138 offset:8064
	s_wait_dscnt 0x6
	v_mul_f64_e32 v[56:57], v[2:3], v[30:31]
	v_mul_f64_e32 v[2:3], v[2:3], v[28:29]
	s_wait_dscnt 0x5
	v_mul_f64_e32 v[58:59], v[6:7], v[34:35]
	v_mul_f64_e32 v[6:7], v[6:7], v[32:33]
	;; [unrolled: 3-line block ×7, first 2 shown]
	v_fma_f64 v[28:29], v[0:1], v[28:29], v[56:57]
	v_fma_f64 v[2:3], v[0:1], v[30:31], -v[2:3]
	v_fma_f64 v[30:31], v[4:5], v[32:33], v[58:59]
	v_fma_f64 v[6:7], v[4:5], v[34:35], -v[6:7]
	;; [unrolled: 2-line block ×7, first 2 shown]
	v_mad_co_u64_u32 v[4:5], null, s7, v136, v[71:72]
	s_delay_alu instid0(VALU_DEP_1) | instskip(NEXT) | instid1(VALU_DEP_1)
	v_dual_mov_b32 v0, v73 :: v_dual_mov_b32 v71, v4
	v_mad_co_u64_u32 v[0:1], null, s5, v137, v[0:1]
	s_delay_alu instid0(VALU_DEP_1) | instskip(NEXT) | instid1(VALU_DEP_3)
	v_mov_b32_e32 v73, v0
	v_lshlrev_b64_e32 v[0:1], 4, v[70:71]
	s_delay_alu instid0(VALU_DEP_2) | instskip(NEXT) | instid1(VALU_DEP_2)
	v_lshlrev_b64_e32 v[42:43], 4, v[72:73]
	v_add_co_u32 v44, vcc_lo, s2, v0
	s_wait_alu 0xfffd
	s_delay_alu instid0(VALU_DEP_3)
	v_add_co_ci_u32_e32 v45, vcc_lo, s3, v1, vcc_lo
	s_wait_alu 0xfffe
	v_mul_f64_e32 v[0:1], s[0:1], v[28:29]
	v_mul_f64_e32 v[2:3], s[0:1], v[2:3]
	;; [unrolled: 1-line block ×14, first 2 shown]
	v_add_co_u32 v28, vcc_lo, v44, v42
	s_wait_alu 0xfffd
	v_add_co_ci_u32_e32 v29, vcc_lo, v45, v43, vcc_lo
	s_mul_u64 s[0:1], s[4:5], 0x540
	s_wait_alu 0xfffe
	v_add_co_u32 v30, vcc_lo, v28, s0
	s_wait_alu 0xfffd
	v_add_co_ci_u32_e32 v31, vcc_lo, s1, v29, vcc_lo
	s_delay_alu instid0(VALU_DEP_2) | instskip(SKIP_1) | instid1(VALU_DEP_2)
	v_add_co_u32 v32, vcc_lo, v30, s0
	s_wait_alu 0xfffd
	v_add_co_ci_u32_e32 v33, vcc_lo, s1, v31, vcc_lo
	s_delay_alu instid0(VALU_DEP_2) | instskip(SKIP_1) | instid1(VALU_DEP_2)
	;; [unrolled: 4-line block ×5, first 2 shown]
	v_add_co_u32 v40, vcc_lo, v38, s0
	s_wait_alu 0xfffd
	v_add_co_ci_u32_e32 v41, vcc_lo, s1, v39, vcc_lo
	s_clause 0x4
	global_store_b128 v[28:29], v[0:3], off
	global_store_b128 v[30:31], v[4:7], off
	;; [unrolled: 1-line block ×7, first 2 shown]
.LBB0_18:
	s_nop 0
	s_sendmsg sendmsg(MSG_DEALLOC_VGPRS)
	s_endpgm
	.section	.rodata,"a",@progbits
	.p2align	6, 0x0
	.amdhsa_kernel bluestein_single_fwd_len588_dim1_dp_op_CI_CI
		.amdhsa_group_segment_fixed_size 28224
		.amdhsa_private_segment_fixed_size 0
		.amdhsa_kernarg_size 104
		.amdhsa_user_sgpr_count 2
		.amdhsa_user_sgpr_dispatch_ptr 0
		.amdhsa_user_sgpr_queue_ptr 0
		.amdhsa_user_sgpr_kernarg_segment_ptr 1
		.amdhsa_user_sgpr_dispatch_id 0
		.amdhsa_user_sgpr_private_segment_size 0
		.amdhsa_wavefront_size32 1
		.amdhsa_uses_dynamic_stack 0
		.amdhsa_enable_private_segment 0
		.amdhsa_system_sgpr_workgroup_id_x 1
		.amdhsa_system_sgpr_workgroup_id_y 0
		.amdhsa_system_sgpr_workgroup_id_z 0
		.amdhsa_system_sgpr_workgroup_info 0
		.amdhsa_system_vgpr_workitem_id 0
		.amdhsa_next_free_vgpr 195
		.amdhsa_next_free_sgpr 32
		.amdhsa_reserve_vcc 1
		.amdhsa_float_round_mode_32 0
		.amdhsa_float_round_mode_16_64 0
		.amdhsa_float_denorm_mode_32 3
		.amdhsa_float_denorm_mode_16_64 3
		.amdhsa_fp16_overflow 0
		.amdhsa_workgroup_processor_mode 1
		.amdhsa_memory_ordered 1
		.amdhsa_forward_progress 0
		.amdhsa_round_robin_scheduling 0
		.amdhsa_exception_fp_ieee_invalid_op 0
		.amdhsa_exception_fp_denorm_src 0
		.amdhsa_exception_fp_ieee_div_zero 0
		.amdhsa_exception_fp_ieee_overflow 0
		.amdhsa_exception_fp_ieee_underflow 0
		.amdhsa_exception_fp_ieee_inexact 0
		.amdhsa_exception_int_div_zero 0
	.end_amdhsa_kernel
	.text
.Lfunc_end0:
	.size	bluestein_single_fwd_len588_dim1_dp_op_CI_CI, .Lfunc_end0-bluestein_single_fwd_len588_dim1_dp_op_CI_CI
                                        ; -- End function
	.section	.AMDGPU.csdata,"",@progbits
; Kernel info:
; codeLenInByte = 9344
; NumSgprs: 34
; NumVgprs: 195
; ScratchSize: 0
; MemoryBound: 0
; FloatMode: 240
; IeeeMode: 1
; LDSByteSize: 28224 bytes/workgroup (compile time only)
; SGPRBlocks: 4
; VGPRBlocks: 24
; NumSGPRsForWavesPerEU: 34
; NumVGPRsForWavesPerEU: 195
; Occupancy: 7
; WaveLimiterHint : 1
; COMPUTE_PGM_RSRC2:SCRATCH_EN: 0
; COMPUTE_PGM_RSRC2:USER_SGPR: 2
; COMPUTE_PGM_RSRC2:TRAP_HANDLER: 0
; COMPUTE_PGM_RSRC2:TGID_X_EN: 1
; COMPUTE_PGM_RSRC2:TGID_Y_EN: 0
; COMPUTE_PGM_RSRC2:TGID_Z_EN: 0
; COMPUTE_PGM_RSRC2:TIDIG_COMP_CNT: 0
	.text
	.p2alignl 7, 3214868480
	.fill 96, 4, 3214868480
	.type	__hip_cuid_c753dbe4e9b4c2aa,@object ; @__hip_cuid_c753dbe4e9b4c2aa
	.section	.bss,"aw",@nobits
	.globl	__hip_cuid_c753dbe4e9b4c2aa
__hip_cuid_c753dbe4e9b4c2aa:
	.byte	0                               ; 0x0
	.size	__hip_cuid_c753dbe4e9b4c2aa, 1

	.ident	"AMD clang version 19.0.0git (https://github.com/RadeonOpenCompute/llvm-project roc-6.4.0 25133 c7fe45cf4b819c5991fe208aaa96edf142730f1d)"
	.section	".note.GNU-stack","",@progbits
	.addrsig
	.addrsig_sym __hip_cuid_c753dbe4e9b4c2aa
	.amdgpu_metadata
---
amdhsa.kernels:
  - .args:
      - .actual_access:  read_only
        .address_space:  global
        .offset:         0
        .size:           8
        .value_kind:     global_buffer
      - .actual_access:  read_only
        .address_space:  global
        .offset:         8
        .size:           8
        .value_kind:     global_buffer
      - .actual_access:  read_only
        .address_space:  global
        .offset:         16
        .size:           8
        .value_kind:     global_buffer
      - .actual_access:  read_only
        .address_space:  global
        .offset:         24
        .size:           8
        .value_kind:     global_buffer
      - .actual_access:  read_only
        .address_space:  global
        .offset:         32
        .size:           8
        .value_kind:     global_buffer
      - .offset:         40
        .size:           8
        .value_kind:     by_value
      - .address_space:  global
        .offset:         48
        .size:           8
        .value_kind:     global_buffer
      - .address_space:  global
        .offset:         56
        .size:           8
        .value_kind:     global_buffer
      - .address_space:  global
        .offset:         64
        .size:           8
        .value_kind:     global_buffer
      - .address_space:  global
        .offset:         72
        .size:           8
        .value_kind:     global_buffer
      - .offset:         80
        .size:           4
        .value_kind:     by_value
      - .address_space:  global
        .offset:         88
        .size:           8
        .value_kind:     global_buffer
      - .address_space:  global
        .offset:         96
        .size:           8
        .value_kind:     global_buffer
    .group_segment_fixed_size: 28224
    .kernarg_segment_align: 8
    .kernarg_segment_size: 104
    .language:       OpenCL C
    .language_version:
      - 2
      - 0
    .max_flat_workgroup_size: 252
    .name:           bluestein_single_fwd_len588_dim1_dp_op_CI_CI
    .private_segment_fixed_size: 0
    .sgpr_count:     34
    .sgpr_spill_count: 0
    .symbol:         bluestein_single_fwd_len588_dim1_dp_op_CI_CI.kd
    .uniform_work_group_size: 1
    .uses_dynamic_stack: false
    .vgpr_count:     195
    .vgpr_spill_count: 0
    .wavefront_size: 32
    .workgroup_processor_mode: 1
amdhsa.target:   amdgcn-amd-amdhsa--gfx1201
amdhsa.version:
  - 1
  - 2
...

	.end_amdgpu_metadata
